;; amdgpu-corpus repo=ROCm/rocFFT kind=compiled arch=gfx1201 opt=O3
	.text
	.amdgcn_target "amdgcn-amd-amdhsa--gfx1201"
	.amdhsa_code_object_version 6
	.protected	fft_rtc_back_len336_factors_7_8_2_3_wgs_252_tpt_42_halfLds_dim3_dp_ip_CI_sbcc_twdbase8_2step_dirReg_intrinsicReadWrite ; -- Begin function fft_rtc_back_len336_factors_7_8_2_3_wgs_252_tpt_42_halfLds_dim3_dp_ip_CI_sbcc_twdbase8_2step_dirReg_intrinsicReadWrite
	.globl	fft_rtc_back_len336_factors_7_8_2_3_wgs_252_tpt_42_halfLds_dim3_dp_ip_CI_sbcc_twdbase8_2step_dirReg_intrinsicReadWrite
	.p2align	8
	.type	fft_rtc_back_len336_factors_7_8_2_3_wgs_252_tpt_42_halfLds_dim3_dp_ip_CI_sbcc_twdbase8_2step_dirReg_intrinsicReadWrite,@function
fft_rtc_back_len336_factors_7_8_2_3_wgs_252_tpt_42_halfLds_dim3_dp_ip_CI_sbcc_twdbase8_2step_dirReg_intrinsicReadWrite: ; @fft_rtc_back_len336_factors_7_8_2_3_wgs_252_tpt_42_halfLds_dim3_dp_ip_CI_sbcc_twdbase8_2step_dirReg_intrinsicReadWrite
; %bb.0:
	s_load_b128 s[4:7], s[0:1], 0x10
	s_mov_b32 s11, 0
	s_mov_b32 s2, 0xaaa80000
	s_movk_i32 s3, 0xaa
	s_mov_b32 s10, s11
	s_delay_alu instid0(SALU_CYCLE_1) | instskip(NEXT) | instid1(SALU_CYCLE_1)
	s_add_nc_u64 s[8:9], s[10:11], s[2:3]
	s_add_co_i32 s9, s9, 0x2aaaaa00
	s_delay_alu instid0(SALU_CYCLE_1) | instskip(NEXT) | instid1(SALU_CYCLE_1)
	s_mul_u64 s[12:13], s[8:9], -6
	s_mul_hi_u32 s15, s8, s13
	s_mul_i32 s14, s8, s13
	s_mul_hi_u32 s10, s8, s12
	s_mul_i32 s17, s9, s12
	s_add_nc_u64 s[14:15], s[10:11], s[14:15]
	s_mul_hi_u32 s16, s9, s12
	s_mul_hi_u32 s18, s9, s13
	s_add_co_u32 s10, s14, s17
	s_wait_kmcnt 0x0
	s_load_b64 s[2:3], s[4:5], 0x8
	s_add_co_ci_u32 s10, s15, s16
	s_mul_i32 s12, s9, s13
	s_add_co_ci_u32 s13, s18, 0
	s_delay_alu instid0(SALU_CYCLE_1) | instskip(NEXT) | instid1(SALU_CYCLE_1)
	s_add_nc_u64 s[12:13], s[10:11], s[12:13]
	v_add_co_u32 v1, s8, s8, s12
	s_delay_alu instid0(VALU_DEP_1) | instskip(SKIP_1) | instid1(VALU_DEP_1)
	s_cmp_lg_u32 s8, 0
	s_add_co_ci_u32 s14, s9, s13
	v_readfirstlane_b32 s15, v1
	s_wait_kmcnt 0x0
	s_add_nc_u64 s[8:9], s[2:3], -1
	s_wait_alu 0xfffe
	s_mul_hi_u32 s13, s8, s14
	s_mul_i32 s12, s8, s14
	s_mul_hi_u32 s10, s8, s15
	s_mul_hi_u32 s17, s9, s15
	s_mul_i32 s15, s9, s15
	s_wait_alu 0xfffe
	s_add_nc_u64 s[12:13], s[10:11], s[12:13]
	s_mul_hi_u32 s16, s9, s14
	s_wait_alu 0xfffe
	s_add_co_u32 s10, s12, s15
	s_add_co_ci_u32 s10, s13, s17
	s_mul_i32 s14, s9, s14
	s_add_co_ci_u32 s15, s16, 0
	s_delay_alu instid0(SALU_CYCLE_1) | instskip(SKIP_2) | instid1(SALU_CYCLE_1)
	s_add_nc_u64 s[12:13], s[10:11], s[14:15]
	s_wait_alu 0xfffe
	s_mul_u64 s[14:15], s[12:13], 6
	v_sub_co_u32 v1, s8, s8, s14
	s_delay_alu instid0(VALU_DEP_1) | instskip(SKIP_1) | instid1(VALU_DEP_1)
	s_cmp_lg_u32 s8, 0
	s_sub_co_ci_u32 s16, s9, s15
	v_sub_co_u32 v2, s10, v1, 6
	s_delay_alu instid0(VALU_DEP_1) | instskip(SKIP_2) | instid1(VALU_DEP_1)
	s_cmp_lg_u32 s10, 0
	s_add_nc_u64 s[14:15], s[12:13], 2
	s_sub_co_ci_u32 s10, s16, 0
	v_readfirstlane_b32 s8, v2
	s_delay_alu instid0(VALU_DEP_1)
	s_cmp_gt_u32 s8, 5
	s_add_nc_u64 s[8:9], s[12:13], 1
	s_cselect_b32 s17, -1, 0
	s_cmp_eq_u32 s10, 0
	s_cselect_b32 s10, s17, -1
	v_readfirstlane_b32 s17, v1
	s_cmp_lg_u32 s10, 0
	s_wait_alu 0xfffe
	s_cselect_b32 s8, s14, s8
	s_cselect_b32 s9, s15, s9
	s_cmp_gt_u32 s17, 5
	s_cselect_b32 s10, -1, 0
	s_cmp_eq_u32 s16, 0
	s_mov_b64 s[16:17], 0
	s_cselect_b32 s10, s10, -1
	s_delay_alu instid0(SALU_CYCLE_1)
	s_cmp_lg_u32 s10, 0
	s_mov_b32 s10, ttmp9
	s_wait_alu 0xfffe
	s_cselect_b32 s9, s9, s13
	s_cselect_b32 s8, s8, s12
	s_wait_alu 0xfffe
	s_add_nc_u64 s[12:13], s[8:9], 1
	s_wait_alu 0xfffe
	v_cmp_lt_u64_e64 s8, s[10:11], s[12:13]
	s_delay_alu instid0(VALU_DEP_1)
	s_and_b32 vcc_lo, exec_lo, s8
	s_cbranch_vccnz .LBB0_2
; %bb.1:
	v_cvt_f32_u32_e32 v1, s12
	s_sub_co_i32 s9, 0, s12
	s_mov_b32 s17, s11
	s_delay_alu instid0(VALU_DEP_1) | instskip(NEXT) | instid1(TRANS32_DEP_1)
	v_rcp_iflag_f32_e32 v1, v1
	v_mul_f32_e32 v1, 0x4f7ffffe, v1
	s_delay_alu instid0(VALU_DEP_1) | instskip(NEXT) | instid1(VALU_DEP_1)
	v_cvt_u32_f32_e32 v1, v1
	v_readfirstlane_b32 s8, v1
	s_wait_alu 0xfffe
	s_delay_alu instid0(VALU_DEP_1)
	s_mul_i32 s9, s9, s8
	s_wait_alu 0xfffe
	s_mul_hi_u32 s9, s8, s9
	s_wait_alu 0xfffe
	s_add_co_i32 s8, s8, s9
	s_wait_alu 0xfffe
	s_mul_hi_u32 s8, s10, s8
	s_wait_alu 0xfffe
	s_mul_i32 s9, s8, s12
	s_add_co_i32 s14, s8, 1
	s_wait_alu 0xfffe
	s_sub_co_i32 s9, s10, s9
	s_wait_alu 0xfffe
	s_sub_co_i32 s15, s9, s12
	s_cmp_ge_u32 s9, s12
	s_cselect_b32 s8, s14, s8
	s_wait_alu 0xfffe
	s_cselect_b32 s9, s15, s9
	s_add_co_i32 s14, s8, 1
	s_wait_alu 0xfffe
	s_cmp_ge_u32 s9, s12
	s_cselect_b32 s16, s14, s8
.LBB0_2:
	s_load_b64 s[22:23], s[4:5], 0x10
	s_load_b64 s[14:15], s[6:7], 0x8
	s_mov_b64 s[18:19], s[16:17]
	s_wait_kmcnt 0x0
	v_cmp_lt_u64_e64 s4, s[16:17], s[22:23]
	s_delay_alu instid0(VALU_DEP_1)
	s_and_b32 vcc_lo, exec_lo, s4
	s_cbranch_vccnz .LBB0_4
; %bb.3:
	v_cvt_f32_u32_e32 v1, s22
	s_sub_co_i32 s5, 0, s22
	s_mov_b32 s19, 0
	s_delay_alu instid0(VALU_DEP_1) | instskip(NEXT) | instid1(TRANS32_DEP_1)
	v_rcp_iflag_f32_e32 v1, v1
	v_mul_f32_e32 v1, 0x4f7ffffe, v1
	s_delay_alu instid0(VALU_DEP_1) | instskip(NEXT) | instid1(VALU_DEP_1)
	v_cvt_u32_f32_e32 v1, v1
	v_readfirstlane_b32 s4, v1
	s_delay_alu instid0(VALU_DEP_1) | instskip(NEXT) | instid1(SALU_CYCLE_1)
	s_mul_i32 s5, s5, s4
	s_mul_hi_u32 s5, s4, s5
	s_delay_alu instid0(SALU_CYCLE_1) | instskip(NEXT) | instid1(SALU_CYCLE_1)
	s_add_co_i32 s4, s4, s5
	s_mul_hi_u32 s4, s16, s4
	s_delay_alu instid0(SALU_CYCLE_1) | instskip(NEXT) | instid1(SALU_CYCLE_1)
	s_mul_i32 s4, s4, s22
	s_sub_co_i32 s4, s16, s4
	s_delay_alu instid0(SALU_CYCLE_1) | instskip(SKIP_2) | instid1(SALU_CYCLE_1)
	s_sub_co_i32 s5, s4, s22
	s_cmp_ge_u32 s4, s22
	s_cselect_b32 s4, s5, s4
	s_sub_co_i32 s5, s4, s22
	s_cmp_ge_u32 s4, s22
	s_cselect_b32 s18, s5, s4
.LBB0_4:
	s_load_b64 s[4:5], s[0:1], 0x50
	s_clause 0x1
	s_load_b64 s[8:9], s[6:7], 0x0
	s_load_b64 s[20:21], s[6:7], 0x10
	s_mul_u64 s[24:25], s[22:23], s[12:13]
	s_mov_b64 s[22:23], 0
	s_wait_kmcnt 0x0
	v_cmp_lt_u64_e64 s9, s[10:11], s[24:25]
	s_delay_alu instid0(VALU_DEP_1)
	s_and_b32 vcc_lo, exec_lo, s9
	s_cbranch_vccnz .LBB0_6
; %bb.5:
	v_cvt_f32_u32_e32 v1, s24
	s_sub_co_i32 s22, 0, s24
	s_delay_alu instid0(VALU_DEP_1) | instskip(NEXT) | instid1(TRANS32_DEP_1)
	v_rcp_iflag_f32_e32 v1, v1
	v_mul_f32_e32 v1, 0x4f7ffffe, v1
	s_delay_alu instid0(VALU_DEP_1) | instskip(NEXT) | instid1(VALU_DEP_1)
	v_cvt_u32_f32_e32 v1, v1
	v_readfirstlane_b32 s9, v1
	s_wait_alu 0xfffe
	s_delay_alu instid0(VALU_DEP_1)
	s_mul_i32 s22, s22, s9
	s_wait_alu 0xfffe
	s_mul_hi_u32 s22, s9, s22
	s_wait_alu 0xfffe
	s_add_co_i32 s9, s9, s22
	s_wait_alu 0xfffe
	s_mul_hi_u32 s9, s10, s9
	s_wait_alu 0xfffe
	s_mul_i32 s22, s9, s24
	s_add_co_i32 s23, s9, 1
	s_wait_alu 0xfffe
	s_sub_co_i32 s22, s10, s22
	s_wait_alu 0xfffe
	s_sub_co_i32 s25, s22, s24
	s_cmp_ge_u32 s22, s24
	s_cselect_b32 s9, s23, s9
	s_wait_alu 0xfffe
	s_cselect_b32 s22, s25, s22
	s_add_co_i32 s25, s9, 1
	s_wait_alu 0xfffe
	s_cmp_ge_u32 s22, s24
	s_mov_b32 s23, 0
	s_cselect_b32 s22, s25, s9
.LBB0_6:
	v_mul_u32_u24_e32 v1, 0x2aab, v0
	s_load_b64 s[6:7], s[6:7], 0x18
	s_mul_u64 s[12:13], s[16:17], s[12:13]
	v_mov_b32_e32 v7, 0
	s_wait_alu 0xfffe
	s_sub_nc_u64 s[10:11], s[10:11], s[12:13]
	v_lshrrev_b32_e32 v85, 16, v1
	s_wait_alu 0xfffe
	s_mul_u64 s[10:11], s[10:11], 6
	s_mul_u64 s[12:13], s[20:21], s[18:19]
	s_wait_alu 0xfffe
	s_add_nc_u64 s[18:19], s[10:11], 6
	s_mul_u64 s[16:17], s[14:15], s[10:11]
	v_mul_lo_u16 v1, v85, 6
	s_delay_alu instid0(VALU_DEP_1) | instskip(NEXT) | instid1(VALU_DEP_1)
	v_sub_nc_u16 v1, v0, v1
	v_and_b32_e32 v86, 0xffff, v1
	s_delay_alu instid0(VALU_DEP_1)
	v_mad_co_u64_u32 v[60:61], null, s14, v86, 0
	v_add_co_u32 v57, s9, s10, v86
	s_wait_alu 0xf1ff
	v_add_co_ci_u32_e64 v58, null, s11, 0, s9
	v_mov_b32_e32 v8, 0
	v_cmp_le_u64_e64 s9, s[18:19], s[2:3]
	v_mov_b32_e32 v1, v61
	s_delay_alu instid0(VALU_DEP_4)
	v_cmp_gt_u64_e32 vcc_lo, s[2:3], v[57:58]
	s_wait_alu 0xfffe
	s_add_nc_u64 s[10:11], s[12:13], s[16:17]
	s_wait_kmcnt 0x0
	s_mul_u64 s[2:3], s[6:7], s[22:23]
	v_dual_mov_b32 v3, v7 :: v_dual_mov_b32 v4, v8
	v_mad_co_u64_u32 v[1:2], null, s15, v86, v[1:2]
	v_dual_mov_b32 v1, v7 :: v_dual_mov_b32 v2, v8
	s_wait_alu 0xfffe
	s_add_nc_u64 s[6:7], s[2:3], s[10:11]
	s_or_b32 s7, s9, vcc_lo
	s_delay_alu instid0(SALU_CYCLE_1)
	s_and_saveexec_b32 s3, s7
	s_cbranch_execz .LBB0_8
; %bb.7:
	v_mul_lo_u32 v1, s8, v85
	v_mov_b32_e32 v2, 0
	s_delay_alu instid0(VALU_DEP_2) | instskip(NEXT) | instid1(VALU_DEP_1)
	v_add3_u32 v1, s6, v60, v1
	v_lshlrev_b64_e32 v[1:2], 4, v[1:2]
	s_delay_alu instid0(VALU_DEP_1) | instskip(SKIP_1) | instid1(VALU_DEP_2)
	v_add_co_u32 v1, s2, s4, v1
	s_wait_alu 0xf1ff
	v_add_co_ci_u32_e64 v2, s2, s5, v2, s2
	global_load_b128 v[1:4], v[1:2], off
.LBB0_8:
	s_wait_alu 0xfffe
	s_or_b32 exec_lo, exec_lo, s3
	v_dual_mov_b32 v5, v7 :: v_dual_mov_b32 v6, v8
	s_and_saveexec_b32 s3, s7
	s_cbranch_execz .LBB0_10
; %bb.9:
	v_dual_mov_b32 v6, 0 :: v_dual_add_nc_u32 v5, 48, v85
	s_delay_alu instid0(VALU_DEP_1) | instskip(NEXT) | instid1(VALU_DEP_1)
	v_mul_lo_u32 v5, s8, v5
	v_add3_u32 v5, s6, v60, v5
	s_delay_alu instid0(VALU_DEP_1) | instskip(NEXT) | instid1(VALU_DEP_1)
	v_lshlrev_b64_e32 v[5:6], 4, v[5:6]
	v_add_co_u32 v5, s2, s4, v5
	s_wait_alu 0xf1ff
	s_delay_alu instid0(VALU_DEP_2)
	v_add_co_ci_u32_e64 v6, s2, s5, v6, s2
	global_load_b128 v[5:8], v[5:6], off
.LBB0_10:
	s_wait_alu 0xfffe
	s_or_b32 exec_lo, exec_lo, s3
	v_mov_b32_e32 v11, 0
	v_mov_b32_e32 v12, 0
	s_delay_alu instid0(VALU_DEP_1)
	v_dual_mov_b32 v16, v12 :: v_dual_mov_b32 v15, v11
	v_dual_mov_b32 v14, v12 :: v_dual_mov_b32 v13, v11
	s_and_saveexec_b32 s3, s7
	s_cbranch_execz .LBB0_12
; %bb.11:
	v_dual_mov_b32 v10, 0 :: v_dual_add_nc_u32 v9, 0x60, v85
	s_delay_alu instid0(VALU_DEP_1) | instskip(NEXT) | instid1(VALU_DEP_1)
	v_mul_lo_u32 v9, s8, v9
	v_add3_u32 v9, s6, v60, v9
	s_delay_alu instid0(VALU_DEP_1) | instskip(NEXT) | instid1(VALU_DEP_1)
	v_lshlrev_b64_e32 v[9:10], 4, v[9:10]
	v_add_co_u32 v9, s2, s4, v9
	s_wait_alu 0xf1ff
	s_delay_alu instid0(VALU_DEP_2)
	v_add_co_ci_u32_e64 v10, s2, s5, v10, s2
	global_load_b128 v[13:16], v[9:10], off
.LBB0_12:
	s_wait_alu 0xfffe
	s_or_b32 exec_lo, exec_lo, s3
	v_dual_mov_b32 v9, v11 :: v_dual_mov_b32 v10, v12
	s_and_saveexec_b32 s3, s7
	s_cbranch_execz .LBB0_14
; %bb.13:
	v_dual_mov_b32 v10, 0 :: v_dual_add_nc_u32 v9, 0x90, v85
	s_delay_alu instid0(VALU_DEP_1) | instskip(NEXT) | instid1(VALU_DEP_1)
	v_mul_lo_u32 v9, s8, v9
	v_add3_u32 v9, s6, v60, v9
	s_delay_alu instid0(VALU_DEP_1) | instskip(NEXT) | instid1(VALU_DEP_1)
	v_lshlrev_b64_e32 v[9:10], 4, v[9:10]
	v_add_co_u32 v9, s2, s4, v9
	s_wait_alu 0xf1ff
	s_delay_alu instid0(VALU_DEP_2)
	v_add_co_ci_u32_e64 v10, s2, s5, v10, s2
	global_load_b128 v[9:12], v[9:10], off
.LBB0_14:
	s_wait_alu 0xfffe
	s_or_b32 exec_lo, exec_lo, s3
	v_mov_b32_e32 v23, 0
	v_mov_b32_e32 v24, 0
	s_delay_alu instid0(VALU_DEP_2) | instskip(NEXT) | instid1(VALU_DEP_2)
	v_mov_b32_e32 v19, v23
	v_dual_mov_b32 v17, v23 :: v_dual_mov_b32 v18, v24
	v_mov_b32_e32 v20, v24
	s_and_saveexec_b32 s3, s7
	s_cbranch_execz .LBB0_16
; %bb.15:
	v_or_b32_e32 v17, 0xc0, v85
	v_mov_b32_e32 v18, 0
	s_delay_alu instid0(VALU_DEP_2) | instskip(NEXT) | instid1(VALU_DEP_1)
	v_mul_lo_u32 v17, s8, v17
	v_add3_u32 v17, s6, v60, v17
	s_delay_alu instid0(VALU_DEP_1) | instskip(NEXT) | instid1(VALU_DEP_1)
	v_lshlrev_b64_e32 v[17:18], 4, v[17:18]
	v_add_co_u32 v17, s2, s4, v17
	s_wait_alu 0xf1ff
	s_delay_alu instid0(VALU_DEP_2)
	v_add_co_ci_u32_e64 v18, s2, s5, v18, s2
	global_load_b128 v[17:20], v[17:18], off
.LBB0_16:
	s_wait_alu 0xfffe
	s_or_b32 exec_lo, exec_lo, s3
	v_dual_mov_b32 v21, v23 :: v_dual_mov_b32 v22, v24
	s_and_saveexec_b32 s3, s7
	s_cbranch_execz .LBB0_18
; %bb.17:
	v_dual_mov_b32 v22, 0 :: v_dual_add_nc_u32 v21, 0xf0, v85
	s_delay_alu instid0(VALU_DEP_1) | instskip(NEXT) | instid1(VALU_DEP_1)
	v_mul_lo_u32 v21, s8, v21
	v_add3_u32 v21, s6, v60, v21
	s_delay_alu instid0(VALU_DEP_1) | instskip(NEXT) | instid1(VALU_DEP_1)
	v_lshlrev_b64_e32 v[21:22], 4, v[21:22]
	v_add_co_u32 v21, s2, s4, v21
	s_wait_alu 0xf1ff
	s_delay_alu instid0(VALU_DEP_2)
	v_add_co_ci_u32_e64 v22, s2, s5, v22, s2
	global_load_b128 v[21:24], v[21:22], off
.LBB0_18:
	s_wait_alu 0xfffe
	s_or_b32 exec_lo, exec_lo, s3
	v_mov_b32_e32 v27, 0
	v_mov_b32_e32 v28, 0
	s_delay_alu instid0(VALU_DEP_1)
	v_dual_mov_b32 v32, v28 :: v_dual_mov_b32 v31, v27
	v_dual_mov_b32 v30, v28 :: v_dual_mov_b32 v29, v27
	s_and_saveexec_b32 s3, s7
	s_cbranch_execz .LBB0_20
; %bb.19:
	v_dual_mov_b32 v26, 0 :: v_dual_add_nc_u32 v25, 0x120, v85
	s_delay_alu instid0(VALU_DEP_1) | instskip(NEXT) | instid1(VALU_DEP_1)
	v_mul_lo_u32 v25, s8, v25
	v_add3_u32 v25, s6, v60, v25
	s_delay_alu instid0(VALU_DEP_1) | instskip(NEXT) | instid1(VALU_DEP_1)
	v_lshlrev_b64_e32 v[25:26], 4, v[25:26]
	v_add_co_u32 v25, s2, s4, v25
	s_wait_alu 0xf1ff
	s_delay_alu instid0(VALU_DEP_2)
	v_add_co_ci_u32_e64 v26, s2, s5, v26, s2
	global_load_b128 v[29:32], v[25:26], off
.LBB0_20:
	s_wait_alu 0xfffe
	s_or_b32 exec_lo, exec_lo, s3
	v_cmp_gt_u32_e64 s3, 36, v0
	v_cmp_lt_u32_e64 s2, 35, v0
	v_cndmask_b32_e64 v83, 0, 1, vcc_lo
	v_add_nc_u32_e32 v84, 42, v85
	s_wait_alu 0xf1ff
	v_cndmask_b32_e64 v25, 0, 1, s3
	s_or_b32 vcc_lo, s2, s9
	s_wait_alu 0xfffe
	s_delay_alu instid0(VALU_DEP_1) | instskip(NEXT) | instid1(VALU_DEP_1)
	v_cndmask_b32_e32 v25, v83, v25, vcc_lo
	v_and_b32_e32 v25, 1, v25
	s_delay_alu instid0(VALU_DEP_1)
	v_cmp_eq_u32_e32 vcc_lo, 1, v25
	v_dual_mov_b32 v25, v27 :: v_dual_mov_b32 v26, v28
	s_and_saveexec_b32 s3, vcc_lo
	s_cbranch_execz .LBB0_22
; %bb.21:
	v_mul_lo_u32 v25, s8, v84
	v_mov_b32_e32 v26, 0
	s_delay_alu instid0(VALU_DEP_2) | instskip(NEXT) | instid1(VALU_DEP_1)
	v_add3_u32 v25, s6, v60, v25
	v_lshlrev_b64_e32 v[25:26], 4, v[25:26]
	s_delay_alu instid0(VALU_DEP_1) | instskip(SKIP_1) | instid1(VALU_DEP_2)
	v_add_co_u32 v25, s2, s4, v25
	s_wait_alu 0xf1ff
	v_add_co_ci_u32_e64 v26, s2, s5, v26, s2
	global_load_b128 v[25:28], v[25:26], off
.LBB0_22:
	s_wait_alu 0xfffe
	s_or_b32 exec_lo, exec_lo, s3
	v_mov_b32_e32 v35, 0
	v_mov_b32_e32 v36, 0
	s_delay_alu instid0(VALU_DEP_1)
	v_dual_mov_b32 v40, v36 :: v_dual_mov_b32 v39, v35
	v_dual_mov_b32 v38, v36 :: v_dual_mov_b32 v37, v35
	s_and_saveexec_b32 s3, vcc_lo
	s_cbranch_execz .LBB0_24
; %bb.23:
	v_dual_mov_b32 v34, 0 :: v_dual_add_nc_u32 v33, 0x5a, v85
	s_delay_alu instid0(VALU_DEP_1) | instskip(NEXT) | instid1(VALU_DEP_1)
	v_mul_lo_u32 v33, s8, v33
	v_add3_u32 v33, s6, v60, v33
	s_delay_alu instid0(VALU_DEP_1) | instskip(NEXT) | instid1(VALU_DEP_1)
	v_lshlrev_b64_e32 v[33:34], 4, v[33:34]
	v_add_co_u32 v33, s2, s4, v33
	s_wait_alu 0xf1ff
	s_delay_alu instid0(VALU_DEP_2)
	v_add_co_ci_u32_e64 v34, s2, s5, v34, s2
	global_load_b128 v[37:40], v[33:34], off
.LBB0_24:
	s_wait_alu 0xfffe
	s_or_b32 exec_lo, exec_lo, s3
	v_dual_mov_b32 v33, v35 :: v_dual_mov_b32 v34, v36
	s_and_saveexec_b32 s3, vcc_lo
	s_cbranch_execz .LBB0_26
; %bb.25:
	v_dual_mov_b32 v34, 0 :: v_dual_add_nc_u32 v33, 0x8a, v85
	s_delay_alu instid0(VALU_DEP_1) | instskip(NEXT) | instid1(VALU_DEP_1)
	v_mul_lo_u32 v33, s8, v33
	v_add3_u32 v33, s6, v60, v33
	s_delay_alu instid0(VALU_DEP_1) | instskip(NEXT) | instid1(VALU_DEP_1)
	v_lshlrev_b64_e32 v[33:34], 4, v[33:34]
	v_add_co_u32 v33, s2, s4, v33
	s_wait_alu 0xf1ff
	s_delay_alu instid0(VALU_DEP_2)
	v_add_co_ci_u32_e64 v34, s2, s5, v34, s2
	global_load_b128 v[33:36], v[33:34], off
.LBB0_26:
	s_wait_alu 0xfffe
	s_or_b32 exec_lo, exec_lo, s3
	v_mov_b32_e32 v43, 0
	v_mov_b32_e32 v44, 0
	s_delay_alu instid0(VALU_DEP_1)
	v_dual_mov_b32 v48, v44 :: v_dual_mov_b32 v47, v43
	v_dual_mov_b32 v46, v44 :: v_dual_mov_b32 v45, v43
	s_and_saveexec_b32 s3, vcc_lo
	s_cbranch_execz .LBB0_28
; %bb.27:
	v_dual_mov_b32 v42, 0 :: v_dual_add_nc_u32 v41, 0xba, v85
	s_delay_alu instid0(VALU_DEP_1) | instskip(NEXT) | instid1(VALU_DEP_1)
	v_mul_lo_u32 v41, s8, v41
	v_add3_u32 v41, s6, v60, v41
	s_delay_alu instid0(VALU_DEP_1) | instskip(NEXT) | instid1(VALU_DEP_1)
	v_lshlrev_b64_e32 v[41:42], 4, v[41:42]
	v_add_co_u32 v41, s2, s4, v41
	s_wait_alu 0xf1ff
	s_delay_alu instid0(VALU_DEP_2)
	v_add_co_ci_u32_e64 v42, s2, s5, v42, s2
	global_load_b128 v[45:48], v[41:42], off
.LBB0_28:
	s_wait_alu 0xfffe
	s_or_b32 exec_lo, exec_lo, s3
	v_dual_mov_b32 v41, v43 :: v_dual_mov_b32 v42, v44
	s_and_saveexec_b32 s3, vcc_lo
	s_cbranch_execz .LBB0_30
; %bb.29:
	v_dual_mov_b32 v42, 0 :: v_dual_add_nc_u32 v41, 0xea, v85
	s_delay_alu instid0(VALU_DEP_1) | instskip(NEXT) | instid1(VALU_DEP_1)
	v_mul_lo_u32 v41, s8, v41
	v_add3_u32 v41, s6, v60, v41
	s_delay_alu instid0(VALU_DEP_1) | instskip(NEXT) | instid1(VALU_DEP_1)
	v_lshlrev_b64_e32 v[41:42], 4, v[41:42]
	v_add_co_u32 v41, s2, s4, v41
	s_wait_alu 0xf1ff
	s_delay_alu instid0(VALU_DEP_2)
	v_add_co_ci_u32_e64 v42, s2, s5, v42, s2
	global_load_b128 v[41:44], v[41:42], off
.LBB0_30:
	s_wait_alu 0xfffe
	s_or_b32 exec_lo, exec_lo, s3
	v_mov_b32_e32 v55, 0
	v_mov_b32_e32 v56, 0
	s_delay_alu instid0(VALU_DEP_2) | instskip(NEXT) | instid1(VALU_DEP_2)
	v_mov_b32_e32 v51, v55
	v_dual_mov_b32 v49, v55 :: v_dual_mov_b32 v50, v56
	v_mov_b32_e32 v52, v56
	s_and_saveexec_b32 s3, vcc_lo
	s_cbranch_execz .LBB0_32
; %bb.31:
	v_dual_mov_b32 v50, 0 :: v_dual_add_nc_u32 v49, 0x11a, v85
	s_delay_alu instid0(VALU_DEP_1) | instskip(NEXT) | instid1(VALU_DEP_1)
	v_mul_lo_u32 v49, s8, v49
	v_add3_u32 v49, s6, v60, v49
	s_delay_alu instid0(VALU_DEP_1) | instskip(NEXT) | instid1(VALU_DEP_1)
	v_lshlrev_b64_e32 v[49:50], 4, v[49:50]
	v_add_co_u32 v49, s2, s4, v49
	s_wait_alu 0xf1ff
	s_delay_alu instid0(VALU_DEP_2)
	v_add_co_ci_u32_e64 v50, s2, s5, v50, s2
	global_load_b128 v[49:52], v[49:50], off
.LBB0_32:
	s_wait_alu 0xfffe
	s_or_b32 exec_lo, exec_lo, s3
	v_dual_mov_b32 v53, v55 :: v_dual_mov_b32 v54, v56
	s_and_saveexec_b32 s2, vcc_lo
	s_cbranch_execz .LBB0_34
; %bb.33:
	v_dual_mov_b32 v54, 0 :: v_dual_add_nc_u32 v53, 0x14a, v85
	s_delay_alu instid0(VALU_DEP_1) | instskip(NEXT) | instid1(VALU_DEP_1)
	v_mul_lo_u32 v53, s8, v53
	v_add3_u32 v53, s6, v60, v53
	s_delay_alu instid0(VALU_DEP_1) | instskip(NEXT) | instid1(VALU_DEP_1)
	v_lshlrev_b64_e32 v[53:54], 4, v[53:54]
	v_add_co_u32 v53, vcc_lo, s4, v53
	s_wait_alu 0xfffd
	s_delay_alu instid0(VALU_DEP_2)
	v_add_co_ci_u32_e32 v54, vcc_lo, s5, v54, vcc_lo
	global_load_b128 v[53:56], v[53:54], off
.LBB0_34:
	s_wait_alu 0xfffe
	s_or_b32 exec_lo, exec_lo, s2
	s_wait_loadcnt 0x0
	v_add_f64_e32 v[58:59], v[5:6], v[29:30]
	v_add_f64_e32 v[69:70], v[13:14], v[21:22]
	;; [unrolled: 1-line block ×4, first 2 shown]
	v_add_f64_e64 v[71:72], v[15:16], -v[23:24]
	v_add_f64_e32 v[73:74], v[9:10], v[17:18]
	v_add_f64_e64 v[75:76], v[19:20], -v[11:12]
	v_add_f64_e64 v[77:78], v[7:8], -v[31:32]
	;; [unrolled: 1-line block ×3, first 2 shown]
	v_add_f64_e32 v[79:80], v[45:46], v[41:42]
	v_add_f64_e64 v[81:82], v[43:44], -v[47:48]
	s_mov_b32 s20, 0x37e14327
	s_mov_b32 s10, 0xe976ee23
	;; [unrolled: 1-line block ×16, first 2 shown]
	s_wait_alu 0xfffe
	s_mov_b32 s26, s24
	s_mov_b32 s28, s18
	;; [unrolled: 1-line block ×4, first 2 shown]
	s_load_b64 s[2:3], s[0:1], 0x0
	v_cmp_gt_u32_e32 vcc_lo, 36, v0
	v_add_f64_e32 v[67:68], v[69:70], v[58:59]
	v_add_f64_e32 v[87:88], v[63:64], v[61:62]
	v_add_f64_e64 v[89:90], v[58:59], -v[73:74]
	v_add_f64_e64 v[91:92], v[75:76], -v[71:72]
	;; [unrolled: 1-line block ×4, first 2 shown]
	v_add_f64_e32 v[101:102], v[75:76], v[71:72]
	v_add_f64_e64 v[99:100], v[65:66], -v[81:82]
	v_add_f64_e64 v[103:104], v[77:78], -v[75:76]
	;; [unrolled: 1-line block ×4, first 2 shown]
	v_add_f64_e32 v[95:96], v[73:74], v[67:68]
	v_add_f64_e64 v[67:68], v[35:36], -v[51:52]
	v_add_f64_e64 v[73:74], v[61:62], -v[79:80]
	v_add_f64_e32 v[87:88], v[79:80], v[87:88]
	v_mul_f64_e32 v[89:90], s[20:21], v[89:90]
	v_mul_f64_e32 v[91:92], s[10:11], v[91:92]
	;; [unrolled: 1-line block ×4, first 2 shown]
	v_add_f64_e32 v[77:78], v[101:102], v[77:78]
	v_mul_f64_e32 v[71:72], s[18:19], v[99:100]
	v_add_f64_e32 v[105:106], v[1:2], v[95:96]
	v_add_f64_e32 v[107:108], v[81:82], v[67:68]
	v_add_f64_e64 v[75:76], v[81:82], -v[67:68]
	v_mul_f64_e32 v[73:74], s[20:21], v[73:74]
	v_add_f64_e32 v[1:2], v[25:26], v[87:88]
	v_fma_f64 v[97:98], v[97:98], s[12:13], v[89:90]
	v_fma_f64 v[99:100], v[103:104], s[18:19], v[91:92]
	v_fma_f64 v[91:92], v[93:94], s[16:17], -v[91:92]
	v_fma_f64 v[79:80], v[103:104], s[28:29], -v[79:80]
	;; [unrolled: 1-line block ×4, first 2 shown]
	v_fma_f64 v[93:94], v[95:96], s[22:23], v[105:106]
	v_add_f64_e32 v[81:82], v[107:108], v[65:66]
	v_fma_f64 v[101:102], v[75:76], s[10:11], v[71:72]
	v_fma_f64 v[95:96], v[69:70], s[12:13], v[73:74]
	;; [unrolled: 1-line block ×6, first 2 shown]
	v_add_f64_e32 v[97:98], v[97:98], v[93:94]
	v_add_f64_e32 v[58:59], v[58:59], v[93:94]
	v_fma_f64 v[77:78], v[81:82], s[14:15], v[101:102]
	v_add_f64_e32 v[89:90], v[89:90], v[93:94]
	v_add_f64_e32 v[79:80], v[95:96], v[25:26]
	;; [unrolled: 1-line block ×3, first 2 shown]
	v_add_f64_e64 v[101:102], v[58:59], -v[91:92]
	v_add_f64_e32 v[91:92], v[91:92], v[58:59]
	v_add_f64_e32 v[95:96], v[99:100], v[89:90]
	;; [unrolled: 1-line block ×3, first 2 shown]
	v_add_f64_e64 v[89:90], v[89:90], -v[99:100]
	v_add_f64_e64 v[97:98], v[97:98], -v[87:88]
	v_mad_u32_u24 v88, 0x150, v85, 0
	s_delay_alu instid0(VALU_DEP_1)
	v_lshl_add_u32 v87, v86, 3, v88
	ds_store_2addr_b64 v87, v[105:106], v[93:94] offset1:6
	ds_store_2addr_b64 v87, v[95:96], v[101:102] offset0:12 offset1:18
	ds_store_2addr_b64 v87, v[91:92], v[89:90] offset0:24 offset1:30
	ds_store_b64 v87, v[97:98] offset:288
	s_and_saveexec_b32 s30, vcc_lo
	s_cbranch_execz .LBB0_36
; %bb.35:
	v_add_f64_e64 v[61:62], v[63:64], -v[61:62]
	v_add_f64_e64 v[63:64], v[67:68], -v[65:66]
	v_mul_f64_e32 v[65:66], s[12:13], v[69:70]
	v_mul_f64_e32 v[67:68], s[10:11], v[75:76]
	s_mov_b32 s35, 0x3febfeb5
	s_mov_b32 s34, s16
	v_mul_f64_e32 v[69:70], s[14:15], v[81:82]
	v_fma_f64 v[73:74], v[61:62], s[26:27], -v[73:74]
	v_fma_f64 v[71:72], v[63:64], s[34:35], -v[71:72]
	;; [unrolled: 1-line block ×4, first 2 shown]
	s_delay_alu instid0(VALU_DEP_4) | instskip(NEXT) | instid1(VALU_DEP_4)
	v_add_f64_e32 v[65:66], v[73:74], v[25:26]
	v_add_f64_e32 v[67:68], v[69:70], v[71:72]
	s_delay_alu instid0(VALU_DEP_4) | instskip(NEXT) | instid1(VALU_DEP_4)
	v_add_f64_e32 v[25:26], v[61:62], v[25:26]
	v_add_f64_e32 v[61:62], v[69:70], v[63:64]
	s_delay_alu instid0(VALU_DEP_3) | instskip(SKIP_1) | instid1(VALU_DEP_3)
	v_add_f64_e64 v[63:64], v[65:66], -v[67:68]
	v_add_f64_e32 v[65:66], v[67:68], v[65:66]
	v_add_f64_e64 v[69:70], v[25:26], -v[61:62]
	v_add_f64_e32 v[25:26], v[61:62], v[25:26]
	v_add_f64_e64 v[61:62], v[79:80], -v[77:78]
	v_add_nc_u32_e32 v67, 0x3000, v87
	v_add_nc_u32_e32 v68, 0x3400, v87
	ds_store_2addr_b64 v67, v[1:2], v[58:59] offset0:228 offset1:234
	ds_store_2addr_b64 v67, v[65:66], v[69:70] offset0:240 offset1:246
	;; [unrolled: 1-line block ×3, first 2 shown]
	ds_store_b64 v87, v[61:62] offset:14400
.LBB0_36:
	s_or_b32 exec_lo, exec_lo, s30
	v_add_f64_e32 v[1:2], v[7:8], v[31:32]
	v_add_f64_e32 v[7:8], v[15:16], v[23:24]
	;; [unrolled: 1-line block ×4, first 2 shown]
	v_add_f64_e64 v[13:14], v[13:14], -v[21:22]
	v_add_f64_e32 v[11:12], v[11:12], v[19:20]
	v_add_f64_e64 v[9:10], v[17:18], -v[9:10]
	v_add_f64_e64 v[5:6], v[5:6], -v[29:30]
	v_add_f64_e64 v[19:20], v[37:38], -v[53:54]
	v_add_f64_e32 v[17:18], v[47:48], v[43:44]
	v_add_f64_e64 v[29:30], v[41:42], -v[45:46]
	v_add_f64_e64 v[21:22], v[33:34], -v[49:50]
	global_wb scope:SCOPE_SE
	s_wait_dscnt 0x0
	s_wait_kmcnt 0x0
	s_barrier_signal -1
	s_barrier_wait -1
	global_inv scope:SCOPE_SE
	v_add_f64_e32 v[15:16], v[7:8], v[1:2]
	v_add_f64_e32 v[31:32], v[25:26], v[23:24]
	v_add_f64_e64 v[35:36], v[1:2], -v[11:12]
	v_add_f64_e64 v[37:38], v[9:10], -v[13:14]
	;; [unrolled: 1-line block ×7, first 2 shown]
	v_add_f64_e32 v[15:16], v[11:12], v[15:16]
	v_add_f64_e64 v[11:12], v[11:12], -v[7:8]
	v_add_f64_e32 v[45:46], v[17:18], v[31:32]
	v_add_f64_e32 v[7:8], v[9:10], v[13:14]
	v_add_f64_e64 v[9:10], v[5:6], -v[9:10]
	v_mul_f64_e32 v[13:14], s[20:21], v[35:36]
	v_mul_f64_e32 v[35:36], s[10:11], v[37:38]
	v_add_f64_e64 v[37:38], v[17:18], -v[25:26]
	v_mul_f64_e32 v[31:32], s[20:21], v[33:34]
	v_mul_f64_e32 v[47:48], s[16:17], v[41:42]
	v_add_f64_e32 v[51:52], v[3:4], v[15:16]
	v_add_f64_e32 v[3:4], v[29:30], v[21:22]
	v_mul_f64_e32 v[29:30], s[18:19], v[43:44]
	v_add_f64_e32 v[17:18], v[27:28], v[45:46]
	v_mul_f64_e32 v[49:50], s[12:13], v[11:12]
	v_add_f64_e32 v[5:6], v[7:8], v[5:6]
	v_fma_f64 v[7:8], v[11:12], s[12:13], v[13:14]
	v_fma_f64 v[11:12], v[9:10], s[18:19], v[35:36]
	v_fma_f64 v[33:34], v[41:42], s[16:17], -v[35:36]
	v_fma_f64 v[9:10], v[9:10], s[28:29], -v[47:48]
	;; [unrolled: 1-line block ×3, first 2 shown]
	v_fma_f64 v[15:16], v[15:16], s[22:23], v[51:52]
	v_add_f64_e32 v[41:42], v[3:4], v[19:20]
	v_fma_f64 v[3:4], v[37:38], s[12:13], v[31:32]
	v_fma_f64 v[35:36], v[39:40], s[10:11], v[29:30]
	v_fma_f64 v[27:28], v[45:46], s[22:23], v[17:18]
	v_fma_f64 v[1:2], v[1:2], s[24:25], -v[49:50]
	v_fma_f64 v[11:12], v[5:6], s[14:15], v[11:12]
	v_fma_f64 v[43:44], v[5:6], s[14:15], v[33:34]
	;; [unrolled: 1-line block ×3, first 2 shown]
	v_add_f64_e32 v[7:8], v[7:8], v[15:16]
	v_add_f64_e32 v[9:10], v[13:14], v[15:16]
	v_fma_f64 v[33:34], v[41:42], s[14:15], v[35:36]
	v_add_f64_e32 v[35:36], v[3:4], v[27:28]
	v_add_f64_e32 v[1:2], v[1:2], v[15:16]
	v_mad_i32_i24 v3, 0xfffffee0, v85, v88
	s_delay_alu instid0(VALU_DEP_1)
	v_add_nc_u32_e32 v46, 0x7e0, v3
	v_add_f64_e64 v[53:54], v[7:8], -v[11:12]
	v_add_f64_e64 v[55:56], v[9:10], -v[5:6]
	v_add_f64_e32 v[65:66], v[5:6], v[9:10]
	v_add_f64_e32 v[68:69], v[11:12], v[7:8]
	v_add_f64_e64 v[49:50], v[35:36], -v[33:34]
	v_add_f64_e32 v[61:62], v[43:44], v[1:2]
	v_add_f64_e64 v[63:64], v[1:2], -v[43:44]
	v_lshlrev_b32_e32 v43, 3, v86
	s_delay_alu instid0(VALU_DEP_1) | instskip(SKIP_1) | instid1(VALU_DEP_2)
	v_add_nc_u32_e32 v71, v3, v43
	v_add_nc_u32_e32 v67, v46, v43
	;; [unrolled: 1-line block ×4, first 2 shown]
	ds_load_2addr_b64 v[9:12], v67 offset1:252
	ds_load_b64 v[13:14], v71
	ds_load_b64 v[15:16], v67 offset:4032
	ds_load_2addr_b64 v[5:8], v44 offset1:252
	ds_load_2addr_b64 v[1:4], v45 offset1:252
	v_add_nc_u32_e32 v72, 0x7e0, v67
	v_add_nc_u32_e32 v47, 0xfc0, v67
	global_wb scope:SCOPE_SE
	s_wait_dscnt 0x0
	s_barrier_signal -1
	s_barrier_wait -1
	global_inv scope:SCOPE_SE
	ds_store_2addr_b64 v87, v[51:52], v[53:54] offset1:6
	ds_store_2addr_b64 v87, v[55:56], v[61:62] offset0:12 offset1:18
	ds_store_2addr_b64 v87, v[63:64], v[65:66] offset0:24 offset1:30
	ds_store_b64 v87, v[68:69] offset:288
	s_and_saveexec_b32 s16, vcc_lo
	s_cbranch_execz .LBB0_38
; %bb.37:
	v_mul_f64_e32 v[37:38], s[12:13], v[37:38]
	v_add_f64_e64 v[23:24], v[25:26], -v[23:24]
	v_mul_f64_e32 v[25:26], s[10:11], v[39:40]
	v_add_f64_e64 v[19:20], v[21:22], -v[19:20]
	s_mov_b32 s11, 0x3fe77f67
	s_mov_b32 s10, 0x5476071b
	;; [unrolled: 1-line block ×4, first 2 shown]
	v_mul_f64_e32 v[21:22], s[14:15], v[41:42]
	s_wait_alu 0xfffe
	s_delay_alu instid0(VALU_DEP_4) | instskip(SKIP_1) | instid1(VALU_DEP_3)
	v_fma_f64 v[37:38], v[23:24], s[10:11], -v[37:38]
	s_mov_b32 s11, 0xbfe77f67
	v_fma_f64 v[25:26], v[19:20], s[12:13], -v[25:26]
	s_mov_b32 s13, 0x3febfeb5
	s_wait_alu 0xfffe
	v_fma_f64 v[23:24], v[23:24], s[10:11], -v[31:32]
	v_fma_f64 v[19:20], v[19:20], s[12:13], -v[29:30]
	s_delay_alu instid0(VALU_DEP_4) | instskip(NEXT) | instid1(VALU_DEP_4)
	v_add_f64_e32 v[29:30], v[37:38], v[27:28]
	v_add_f64_e32 v[25:26], v[21:22], v[25:26]
	s_delay_alu instid0(VALU_DEP_4) | instskip(NEXT) | instid1(VALU_DEP_4)
	v_add_f64_e32 v[23:24], v[23:24], v[27:28]
	v_add_f64_e32 v[19:20], v[21:22], v[19:20]
	s_delay_alu instid0(VALU_DEP_3) | instskip(SKIP_2) | instid1(VALU_DEP_4)
	v_add_f64_e32 v[21:22], v[25:26], v[29:30]
	v_add_f64_e64 v[25:26], v[29:30], -v[25:26]
	v_mul_u32_u24_e32 v29, 0x120, v84
	v_add_f64_e64 v[27:28], v[23:24], -v[19:20]
	v_add_f64_e32 v[19:20], v[19:20], v[23:24]
	v_add_f64_e32 v[23:24], v[33:34], v[35:36]
	s_delay_alu instid0(VALU_DEP_4)
	v_add3_u32 v29, v46, v29, v43
	ds_store_2addr_b64 v29, v[17:18], v[49:50] offset1:6
	ds_store_2addr_b64 v29, v[27:28], v[21:22] offset0:12 offset1:18
	ds_store_2addr_b64 v29, v[25:26], v[19:20] offset0:24 offset1:30
	ds_store_b64 v29, v[23:24] offset:288
.LBB0_38:
	s_wait_alu 0xfffe
	s_or_b32 exec_lo, exec_lo, s16
	v_mul_lo_u16 v46, v85, 37
	global_wb scope:SCOPE_SE
	s_wait_dscnt 0x0
	s_barrier_signal -1
	s_barrier_wait -1
	global_inv scope:SCOPE_SE
	v_lshrrev_b16 v48, 8, v46
	s_mov_b32 s10, 0x667f3bcd
	s_mov_b32 s11, 0xbfe6a09e
	s_mov_b32 s13, 0x3fe6a09e
	s_wait_alu 0xfffe
	s_mov_b32 s12, s10
	v_mul_lo_u16 v17, v48, 7
	v_lshrrev_b16 v46, 11, v46
	v_cmp_gt_u32_e32 vcc_lo, 0xa8, v0
	s_delay_alu instid0(VALU_DEP_3) | instskip(NEXT) | instid1(VALU_DEP_1)
	v_sub_nc_u16 v17, v85, v17
	v_and_b32_e32 v70, 0xff, v17
	s_delay_alu instid0(VALU_DEP_1) | instskip(NEXT) | instid1(VALU_DEP_1)
	v_mul_u32_u24_e32 v17, 7, v70
	v_lshlrev_b32_e32 v41, 4, v17
	s_clause 0x6
	global_load_b128 v[17:20], v41, s[2:3] offset:16
	global_load_b128 v[21:24], v41, s[2:3]
	global_load_b128 v[25:28], v41, s[2:3] offset:32
	global_load_b128 v[29:32], v41, s[2:3] offset:48
	global_load_b128 v[33:36], v41, s[2:3] offset:80
	global_load_b128 v[37:40], v41, s[2:3] offset:64
	global_load_b128 v[51:54], v41, s[2:3] offset:96
	ds_load_b64 v[41:42], v47
	ds_load_b64 v[55:56], v72
	;; [unrolled: 1-line block ×3, first 2 shown]
	ds_load_2addr_b64 v[61:64], v44 offset1:252
	ds_load_2addr_b64 v[73:76], v45 offset1:252
	ds_load_b64 v[68:69], v71
	global_wb scope:SCOPE_SE
	s_wait_loadcnt_dscnt 0x0
	s_barrier_signal -1
	s_barrier_wait -1
	global_inv scope:SCOPE_SE
	v_mul_f64_e32 v[77:78], v[11:12], v[19:20]
	v_mul_f64_e32 v[19:20], v[55:56], v[19:20]
	;; [unrolled: 1-line block ×14, first 2 shown]
	v_fma_f64 v[55:56], v[55:56], v[17:18], -v[77:78]
	v_fma_f64 v[11:12], v[11:12], v[17:18], v[19:20]
	v_fma_f64 v[9:10], v[9:10], v[21:22], v[79:80]
	v_fma_f64 v[15:16], v[15:16], v[25:26], v[81:82]
	v_fma_f64 v[17:18], v[41:42], v[25:26], -v[27:28]
	v_fma_f64 v[5:6], v[5:6], v[29:30], v[86:87]
	v_fma_f64 v[1:2], v[1:2], v[33:34], v[88:89]
	;; [unrolled: 1-line block ×3, first 2 shown]
	v_fma_f64 v[19:20], v[73:74], v[33:34], -v[35:36]
	v_fma_f64 v[3:4], v[3:4], v[51:52], v[92:93]
	v_fma_f64 v[25:26], v[75:76], v[51:52], -v[53:54]
	v_fma_f64 v[27:28], v[61:62], v[29:30], -v[31:32]
	;; [unrolled: 1-line block ×4, first 2 shown]
	v_add_nc_u32_e32 v73, 0x54, v85
	v_add_f64_e64 v[5:6], v[13:14], -v[5:6]
	v_add_f64_e64 v[1:2], v[11:12], -v[1:2]
	;; [unrolled: 1-line block ×8, first 2 shown]
	v_fma_f64 v[13:14], v[13:14], 2.0, -v[5:6]
	v_fma_f64 v[11:12], v[11:12], 2.0, -v[1:2]
	v_fma_f64 v[9:10], v[9:10], 2.0, -v[7:8]
	v_add_f64_e32 v[29:30], v[5:6], v[19:20]
	v_fma_f64 v[15:16], v[15:16], 2.0, -v[3:4]
	v_fma_f64 v[19:20], v[55:56], 2.0, -v[19:20]
	;; [unrolled: 1-line block ×3, first 2 shown]
	v_add_f64_e64 v[1:2], v[27:28], -v[1:2]
	v_fma_f64 v[21:22], v[21:22], 2.0, -v[23:24]
	v_fma_f64 v[17:18], v[17:18], 2.0, -v[25:26]
	v_add_f64_e64 v[3:4], v[23:24], -v[3:4]
	v_add_f64_e32 v[31:32], v[7:8], v[25:26]
	v_add_f64_e64 v[11:12], v[13:14], -v[11:12]
	v_fma_f64 v[5:6], v[5:6], 2.0, -v[29:30]
	v_add_f64_e64 v[15:16], v[9:10], -v[15:16]
	v_add_f64_e64 v[19:20], v[33:34], -v[19:20]
	v_fma_f64 v[25:26], v[27:28], 2.0, -v[1:2]
	v_add_f64_e64 v[17:18], v[21:22], -v[17:18]
	v_fma_f64 v[23:24], v[23:24], 2.0, -v[3:4]
	v_fma_f64 v[7:8], v[7:8], 2.0, -v[31:32]
	s_wait_alu 0xfffe
	v_fma_f64 v[27:28], v[31:32], s[12:13], v[29:30]
	v_fma_f64 v[39:40], v[3:4], s[12:13], v[1:2]
	v_fma_f64 v[13:14], v[13:14], 2.0, -v[11:12]
	v_fma_f64 v[9:10], v[9:10], 2.0, -v[15:16]
	;; [unrolled: 1-line block ×3, first 2 shown]
	v_add_f64_e64 v[15:16], v[19:20], -v[15:16]
	v_fma_f64 v[21:22], v[21:22], 2.0, -v[17:18]
	v_fma_f64 v[37:38], v[23:24], s[10:11], v[25:26]
	v_fma_f64 v[35:36], v[7:8], s[10:11], v[5:6]
	v_add_f64_e32 v[17:18], v[11:12], v[17:18]
	v_fma_f64 v[3:4], v[3:4], s[12:13], v[27:28]
	v_fma_f64 v[31:32], v[31:32], s[10:11], v[39:40]
	v_add_f64_e64 v[9:10], v[13:14], -v[9:10]
	v_fma_f64 v[19:20], v[19:20], 2.0, -v[15:16]
	v_add_f64_e64 v[21:22], v[33:34], -v[21:22]
	v_fma_f64 v[27:28], v[7:8], s[10:11], v[37:38]
	v_fma_f64 v[23:24], v[23:24], s[12:13], v[35:36]
	v_mul_lo_u16 v7, 0x93, v84
	v_add_nc_u32_e32 v35, 0x7e, v85
	v_mul_lo_u16 v37, v46, 56
	s_delay_alu instid0(VALU_DEP_3)
	v_lshrrev_b16 v63, 13, v7
	v_fma_f64 v[7:8], v[11:12], 2.0, -v[17:18]
	v_fma_f64 v[11:12], v[29:30], 2.0, -v[3:4]
	v_lshrrev_b16 v29, 3, v73
	v_and_b32_e32 v30, 0xffff, v48
	v_mul_u32_u24_e32 v36, 0x493, v35
	v_mul_lo_u16 v38, v63, 56
	s_delay_alu instid0(VALU_DEP_4) | instskip(NEXT) | instid1(VALU_DEP_4)
	v_mul_lo_u16 v29, v29, 37
	v_mul_u32_u24_e32 v30, 56, v30
	s_delay_alu instid0(VALU_DEP_4) | instskip(SKIP_4) | instid1(VALU_DEP_4)
	v_lshrrev_b32_e32 v48, 16, v36
	v_sub_nc_u16 v36, v85, v37
	v_sub_nc_u16 v37, v84, v38
	v_lshrrev_b16 v64, 8, v29
	v_or_b32_e32 v38, v30, v70
	v_and_b32_e32 v65, 0xff, v36
	s_delay_alu instid0(VALU_DEP_4) | instskip(NEXT) | instid1(VALU_DEP_3)
	v_and_b32_e32 v66, 0xff, v37
	v_mul_u32_u24_e32 v36, 48, v38
	s_delay_alu instid0(VALU_DEP_3) | instskip(NEXT) | instid1(VALU_DEP_3)
	v_lshlrev_b32_e32 v51, 4, v65
	v_lshlrev_b32_e32 v53, 4, v66
	s_delay_alu instid0(VALU_DEP_3) | instskip(SKIP_1) | instid1(VALU_DEP_2)
	v_add3_u32 v52, 0, v36, v43
	v_fma_f64 v[13:14], v[13:14], 2.0, -v[9:10]
	v_add_nc_u32_e32 v54, 0x400, v52
	v_fma_f64 v[29:30], v[33:34], 2.0, -v[21:22]
	v_fma_f64 v[25:26], v[25:26], 2.0, -v[27:28]
	;; [unrolled: 1-line block ×4, first 2 shown]
	v_mul_lo_u16 v2, v64, 56
	v_mul_lo_u16 v1, v48, 56
	ds_store_2addr_b64 v54, v[17:18], v[3:4] offset0:124 offset1:166
	ds_store_2addr_b64 v52, v[7:8], v[11:12] offset0:84 offset1:126
	ds_store_2addr_b64 v52, v[9:10], v[23:24] offset0:168 offset1:210
	ds_store_2addr_b64 v52, v[13:14], v[5:6] offset1:42
	v_sub_nc_u16 v2, v73, v2
	v_sub_nc_u16 v1, v35, v1
	global_wb scope:SCOPE_SE
	s_wait_dscnt 0x0
	s_barrier_signal -1
	s_barrier_wait -1
	v_and_b32_e32 v69, 0xff, v2
	v_and_b32_e32 v68, 0xffff, v1
	global_inv scope:SCOPE_SE
	ds_load_2addr_b64 v[5:8], v44 offset1:252
	ds_load_2addr_b64 v[1:4], v45 offset1:252
	ds_load_b64 v[35:36], v71
	ds_load_b64 v[37:38], v67
	ds_load_b64 v[39:40], v72
	ds_load_b64 v[41:42], v47
	global_wb scope:SCOPE_SE
	s_wait_dscnt 0x0
	v_lshlrev_b32_e32 v55, 4, v69
	s_barrier_signal -1
	s_barrier_wait -1
	global_inv scope:SCOPE_SE
	ds_store_2addr_b64 v52, v[29:30], v[25:26] offset1:42
	ds_store_2addr_b64 v52, v[19:20], v[33:34] offset0:84 offset1:126
	ds_store_2addr_b64 v52, v[21:22], v[27:28] offset0:168 offset1:210
	;; [unrolled: 1-line block ×3, first 2 shown]
	global_wb scope:SCOPE_SE
	s_wait_dscnt 0x0
	s_barrier_signal -1
	s_barrier_wait -1
	global_inv scope:SCOPE_SE
	global_load_b128 v[9:12], v51, s[2:3] offset:784
	v_lshlrev_b32_e32 v21, 4, v68
	s_clause 0x2
	global_load_b128 v[13:16], v53, s[2:3] offset:784
	global_load_b128 v[17:20], v55, s[2:3] offset:784
	;; [unrolled: 1-line block ×3, first 2 shown]
	ds_load_2addr_b64 v[29:32], v44 offset1:252
	ds_load_2addr_b64 v[25:28], v45 offset1:252
	s_wait_loadcnt_dscnt 0x301
	v_mul_f64_e32 v[33:34], v[29:30], v[11:12]
	s_wait_loadcnt 0x2
	v_mul_f64_e32 v[44:45], v[31:32], v[15:16]
	s_wait_loadcnt_dscnt 0x100
	v_mul_f64_e32 v[51:52], v[25:26], v[19:20]
	s_wait_loadcnt 0x0
	v_mul_f64_e32 v[53:54], v[27:28], v[23:24]
	s_delay_alu instid0(VALU_DEP_4) | instskip(NEXT) | instid1(VALU_DEP_4)
	v_fma_f64 v[33:34], v[5:6], v[9:10], v[33:34]
	v_fma_f64 v[44:45], v[7:8], v[13:14], v[44:45]
	s_delay_alu instid0(VALU_DEP_4) | instskip(NEXT) | instid1(VALU_DEP_4)
	v_fma_f64 v[51:52], v[1:2], v[17:18], v[51:52]
	v_fma_f64 v[53:54], v[3:4], v[21:22], v[53:54]
	s_delay_alu instid0(VALU_DEP_4) | instskip(NEXT) | instid1(VALU_DEP_4)
	v_add_f64_e64 v[33:34], v[35:36], -v[33:34]
	v_add_f64_e64 v[55:56], v[37:38], -v[44:45]
	s_delay_alu instid0(VALU_DEP_4) | instskip(NEXT) | instid1(VALU_DEP_4)
	v_add_f64_e64 v[61:62], v[39:40], -v[51:52]
	v_add_f64_e64 v[53:54], v[41:42], -v[53:54]
	v_and_b32_e32 v44, 0xffff, v64
	v_mad_u32_u24 v45, 0x70, v48, v68
	v_add_nc_u32_e32 v68, 0x1500, v71
	s_delay_alu instid0(VALU_DEP_3) | instskip(NEXT) | instid1(VALU_DEP_3)
	v_mad_u32_u24 v44, 0x70, v44, v69
	v_mul_u32_u24_e32 v45, 48, v45
	v_add_nc_u32_e32 v69, 0x2a00, v71
	s_delay_alu instid0(VALU_DEP_3) | instskip(NEXT) | instid1(VALU_DEP_3)
	v_mul_u32_u24_e32 v44, 48, v44
	v_add3_u32 v70, 0, v45, v43
	s_delay_alu instid0(VALU_DEP_2)
	v_add3_u32 v75, 0, v44, v43
	v_fma_f64 v[35:36], v[35:36], 2.0, -v[33:34]
	v_fma_f64 v[37:38], v[37:38], 2.0, -v[55:56]
	v_fma_f64 v[39:40], v[39:40], 2.0, -v[61:62]
	v_fma_f64 v[51:52], v[41:42], 2.0, -v[53:54]
	v_and_b32_e32 v41, 0xffff, v46
	v_and_b32_e32 v42, 0xffff, v63
	s_delay_alu instid0(VALU_DEP_2) | instskip(NEXT) | instid1(VALU_DEP_2)
	v_mad_u32_u24 v41, 0x70, v41, v65
	v_mad_u32_u24 v42, 0x70, v42, v66
	s_delay_alu instid0(VALU_DEP_2) | instskip(NEXT) | instid1(VALU_DEP_2)
	v_mul_u32_u24_e32 v41, 48, v41
	v_mul_u32_u24_e32 v42, 48, v42
	s_delay_alu instid0(VALU_DEP_2) | instskip(NEXT) | instid1(VALU_DEP_2)
	v_add3_u32 v76, 0, v41, v43
	v_add3_u32 v74, 0, v42, v43
	ds_load_b64 v[41:42], v71
	ds_load_b64 v[43:44], v67
	;; [unrolled: 1-line block ×4, first 2 shown]
	global_wb scope:SCOPE_SE
	s_wait_dscnt 0x0
	s_barrier_signal -1
	s_barrier_wait -1
	global_inv scope:SCOPE_SE
	ds_store_b64 v76, v[35:36]
	ds_store_b64 v76, v[33:34] offset:2688
	ds_store_b64 v74, v[37:38]
	ds_store_b64 v74, v[55:56] offset:2688
	;; [unrolled: 2-line block ×4, first 2 shown]
	global_wb scope:SCOPE_SE
	s_wait_dscnt 0x0
	s_barrier_signal -1
	s_barrier_wait -1
	global_inv scope:SCOPE_SE
	ds_load_2addr_b64 v[37:40], v68 offset1:252
	ds_load_2addr_b64 v[33:36], v69 offset1:252
	ds_load_b64 v[63:64], v71
	ds_load_b64 v[65:66], v67
	s_and_saveexec_b32 s10, vcc_lo
	s_cbranch_execz .LBB0_40
; %bb.39:
	ds_load_b64 v[53:54], v71 offset:9408
	ds_load_b64 v[51:52], v72
	ds_load_b64 v[58:59], v71 offset:14784
.LBB0_40:
	s_wait_alu 0xfffe
	s_or_b32 exec_lo, exec_lo, s10
	v_mul_f64_e32 v[5:6], v[5:6], v[11:12]
	v_mul_f64_e32 v[7:8], v[7:8], v[15:16]
	v_mul_f64_e32 v[1:2], v[1:2], v[19:20]
	v_mul_f64_e32 v[3:4], v[3:4], v[23:24]
	global_wb scope:SCOPE_SE
	s_wait_dscnt 0x0
	s_barrier_signal -1
	s_barrier_wait -1
	global_inv scope:SCOPE_SE
	v_fma_f64 v[5:6], v[29:30], v[9:10], -v[5:6]
	v_fma_f64 v[7:8], v[31:32], v[13:14], -v[7:8]
	;; [unrolled: 1-line block ×4, first 2 shown]
	s_delay_alu instid0(VALU_DEP_4) | instskip(NEXT) | instid1(VALU_DEP_4)
	v_add_f64_e64 v[5:6], v[41:42], -v[5:6]
	v_add_f64_e64 v[7:8], v[43:44], -v[7:8]
	s_delay_alu instid0(VALU_DEP_4) | instskip(NEXT) | instid1(VALU_DEP_4)
	v_add_f64_e64 v[1:2], v[45:46], -v[1:2]
	v_add_f64_e64 v[61:62], v[47:48], -v[3:4]
	s_delay_alu instid0(VALU_DEP_4) | instskip(NEXT) | instid1(VALU_DEP_4)
	v_fma_f64 v[3:4], v[41:42], 2.0, -v[5:6]
	v_fma_f64 v[9:10], v[43:44], 2.0, -v[7:8]
	s_delay_alu instid0(VALU_DEP_4) | instskip(NEXT) | instid1(VALU_DEP_4)
	v_fma_f64 v[11:12], v[45:46], 2.0, -v[1:2]
	v_fma_f64 v[55:56], v[47:48], 2.0, -v[61:62]
	ds_store_b64 v76, v[3:4]
	ds_store_b64 v76, v[5:6] offset:2688
	ds_store_b64 v74, v[9:10]
	ds_store_b64 v74, v[7:8] offset:2688
	ds_store_b64 v75, v[11:12]
	ds_store_b64 v75, v[1:2] offset:2688
	ds_store_b64 v70, v[55:56]
	ds_store_b64 v70, v[61:62] offset:2688
	global_wb scope:SCOPE_SE
	s_wait_dscnt 0x0
	s_barrier_signal -1
	s_barrier_wait -1
	global_inv scope:SCOPE_SE
	ds_load_2addr_b64 v[41:44], v68 offset1:252
	ds_load_2addr_b64 v[45:48], v69 offset1:252
	ds_load_b64 v[69:70], v71
	ds_load_b64 v[67:68], v67
	s_and_saveexec_b32 s10, vcc_lo
	s_cbranch_execz .LBB0_42
; %bb.41:
	ds_load_b64 v[61:62], v71 offset:9408
	ds_load_b64 v[55:56], v72
	ds_load_b64 v[49:50], v71 offset:14784
.LBB0_42:
	s_wait_alu 0xfffe
	s_or_b32 exec_lo, exec_lo, s10
	v_lshrrev_b16 v1, 4, v73
	s_load_b64 s[0:1], s[0:1], 0x8
	v_add_nc_u32_e32 v60, s6, v60
	s_delay_alu instid0(VALU_DEP_2) | instskip(NEXT) | instid1(VALU_DEP_1)
	v_mul_lo_u16 v1, v1, 37
	v_lshrrev_b16 v74, 8, v1
	s_delay_alu instid0(VALU_DEP_1) | instskip(NEXT) | instid1(VALU_DEP_1)
	v_mul_lo_u16 v1, 0x70, v74
	v_sub_nc_u16 v1, v73, v1
	s_delay_alu instid0(VALU_DEP_1) | instskip(NEXT) | instid1(VALU_DEP_1)
	v_and_b32_e32 v1, 0xff, v1
	v_mul_lo_u32 v2, v57, v1
	v_add_nc_u32_e32 v3, 0x70, v1
	v_add_nc_u32_e32 v4, 0xe0, v1
	v_lshlrev_b32_e32 v1, 5, v1
	s_clause 0x1
	global_load_b128 v[25:28], v1, s[2:3] offset:1696
	global_load_b128 v[29:32], v1, s[2:3] offset:1680
	v_mul_lo_u32 v3, v57, v3
	v_mul_lo_u32 v4, v57, v4
	v_and_b32_e32 v5, 0xff, v2
	v_lshrrev_b32_e32 v1, 4, v2
	s_delay_alu instid0(VALU_DEP_2)
	v_lshlrev_b32_e32 v2, 4, v5
	v_and_b32_e32 v5, 0xff, v3
	v_lshrrev_b32_e32 v3, 4, v3
	v_and_b32_e32 v6, 0xff, v4
	v_lshrrev_b32_e32 v4, 4, v4
	v_and_b32_e32 v7, 0xff0, v1
	v_lshlrev_b32_e32 v9, 4, v5
	v_and_b32_e32 v13, 0xff0, v3
	v_lshlrev_b32_e32 v17, 4, v6
	v_and_b32_e32 v21, 0xff0, v4
	s_wait_kmcnt 0x0
	s_clause 0x5
	global_load_b128 v[1:4], v2, s[0:1]
	global_load_b128 v[5:8], v7, s[0:1] offset:4096
	global_load_b128 v[9:12], v9, s[0:1]
	global_load_b128 v[13:16], v13, s[0:1] offset:4096
	;; [unrolled: 2-line block ×3, first 2 shown]
	s_and_saveexec_b32 s6, s7
	s_cbranch_execz .LBB0_44
; %bb.43:
	v_dual_mov_b32 v72, 0 :: v_dual_add_nc_u32 v71, 0xffffffba, v85
	v_cmp_gt_u32_e32 vcc_lo, 0x1a4, v0
	v_add_nc_u32_e32 v75, 0xffffff90, v85
	s_wait_alu 0xfffd
	s_delay_alu instid0(VALU_DEP_3) | instskip(SKIP_3) | instid1(VALU_DEP_1)
	v_cndmask_b32_e32 v93, v71, v84, vcc_lo
	v_cmp_gt_u32_e32 vcc_lo, 0x2a0, v0
	s_wait_alu 0xfffd
	v_cndmask_b32_e32 v153, v75, v85, vcc_lo
	v_add_nc_u32_e32 v96, 0xe0, v153
	v_lshlrev_b32_e32 v71, 1, v93
	v_add_nc_u32_e32 v95, 0xe0, v93
	s_delay_alu instid0(VALU_DEP_3) | instskip(NEXT) | instid1(VALU_DEP_3)
	v_mul_lo_u32 v96, v57, v96
	v_lshlrev_b64_e32 v[75:76], 4, v[71:72]
	v_lshlrev_b32_e32 v71, 1, v153
	s_delay_alu instid0(VALU_DEP_4) | instskip(NEXT) | instid1(VALU_DEP_2)
	v_mul_lo_u32 v95, v57, v95
	v_lshlrev_b64_e32 v[77:78], 4, v[71:72]
	s_delay_alu instid0(VALU_DEP_4) | instskip(SKIP_3) | instid1(VALU_DEP_4)
	v_add_co_u32 v79, vcc_lo, s2, v75
	s_wait_alu 0xfffd
	v_add_co_ci_u32_e32 v80, vcc_lo, s3, v76, vcc_lo
	v_mul_lo_u32 v71, v57, v93
	v_add_co_u32 v89, vcc_lo, s2, v77
	s_wait_alu 0xfffd
	v_add_co_ci_u32_e32 v90, vcc_lo, s3, v78, vcc_lo
	s_clause 0x3
	global_load_b128 v[75:78], v[79:80], off offset:1680
	global_load_b128 v[79:82], v[79:80], off offset:1696
	;; [unrolled: 1-line block ×4, first 2 shown]
	v_add_nc_u32_e32 v93, 0x70, v93
	v_and_b32_e32 v98, 0xff, v71
	v_mul_lo_u32 v94, v57, v153
	v_add_nc_u32_e32 v97, 0x70, v153
	v_lshrrev_b32_e32 v71, 4, v71
	v_mul_lo_u32 v93, v57, v93
	v_and_b32_e32 v109, 0xff, v95
	v_lshrrev_b32_e32 v110, 4, v95
	v_mul_lo_u32 v57, v57, v97
	v_lshlrev_b32_e32 v97, 4, v98
	v_and_b32_e32 v99, 0xff, v94
	v_lshrrev_b32_e32 v94, 4, v94
	v_and_b32_e32 v71, 0xff0, v71
	v_and_b32_e32 v113, 0xff, v96
	v_lshrrev_b32_e32 v114, 4, v96
	v_lshlrev_b32_e32 v101, 4, v99
	v_and_b32_e32 v105, 0xff0, v94
	v_and_b32_e32 v111, 0xff, v93
	v_lshrrev_b32_e32 v112, 4, v93
	v_and_b32_e32 v115, 0xff, v57
	v_lshrrev_b32_e32 v57, 4, v57
	s_clause 0x3
	global_load_b128 v[93:96], v97, s[0:1]
	global_load_b128 v[97:100], v71, s[0:1] offset:4096
	global_load_b128 v[101:104], v101, s[0:1]
	global_load_b128 v[105:108], v105, s[0:1] offset:4096
	v_lshlrev_b32_e32 v71, 4, v109
	v_and_b32_e32 v116, 0xff0, v110
	v_lshlrev_b32_e32 v117, 4, v113
	v_and_b32_e32 v121, 0xff0, v114
	;; [unrolled: 2-line block ×4, first 2 shown]
	s_clause 0x7
	global_load_b128 v[109:112], v71, s[0:1]
	global_load_b128 v[113:116], v116, s[0:1] offset:4096
	global_load_b128 v[117:120], v117, s[0:1]
	global_load_b128 v[121:124], v121, s[0:1] offset:4096
	;; [unrolled: 2-line block ×4, first 2 shown]
	s_mov_b32 s0, 0xe8584caa
	s_mov_b32 s1, 0xbfebb67a
	;; [unrolled: 1-line block ×4, first 2 shown]
	v_cmp_lt_u32_e32 vcc_lo, 0x1a3, v0
	s_wait_alu 0xfffd
	v_cndmask_b32_e64 v57, 0, 0xe0, vcc_lo
	v_cmp_lt_u32_e32 vcc_lo, 0x29f, v0
	s_delay_alu instid0(VALU_DEP_2) | instskip(SKIP_2) | instid1(VALU_DEP_2)
	v_add_nc_u32_e32 v57, v84, v57
	s_wait_alu 0xfffd
	v_cndmask_b32_e64 v71, 0, 0x150, vcc_lo
	v_add_nc_u32_e32 v84, 0x70, v57
	s_delay_alu instid0(VALU_DEP_2)
	v_add_nc_u32_e32 v71, v153, v71
	s_wait_loadcnt_dscnt 0xf03
	v_mul_f64_e32 v[141:142], v[43:44], v[77:78]
	s_wait_loadcnt_dscnt 0xe02
	v_mul_f64_e32 v[143:144], v[47:48], v[81:82]
	s_wait_loadcnt 0xd
	v_mul_f64_e32 v[145:146], v[41:42], v[87:88]
	s_wait_loadcnt 0xc
	v_mul_f64_e32 v[147:148], v[45:46], v[91:92]
	v_mul_f64_e32 v[87:88], v[37:38], v[87:88]
	;; [unrolled: 1-line block ×5, first 2 shown]
	v_fma_f64 v[39:40], v[39:40], v[75:76], v[141:142]
	v_fma_f64 v[35:36], v[35:36], v[79:80], v[143:144]
	;; [unrolled: 1-line block ×4, first 2 shown]
	v_fma_f64 v[41:42], v[41:42], v[85:86], -v[87:88]
	v_fma_f64 v[45:46], v[45:46], v[89:90], -v[91:92]
	v_fma_f64 v[43:44], v[43:44], v[75:76], -v[77:78]
	v_fma_f64 v[47:48], v[47:48], v[79:80], -v[81:82]
	s_wait_loadcnt 0xa
	v_mul_f64_e32 v[85:86], v[93:94], v[99:100]
	s_wait_loadcnt 0x8
	v_mul_f64_e32 v[87:88], v[101:102], v[107:108]
	;; [unrolled: 2-line block ×4, first 2 shown]
	v_mul_f64_e32 v[91:92], v[117:118], v[123:124]
	s_wait_loadcnt 0x0
	v_mul_f64_e32 v[143:144], v[133:134], v[139:140]
	v_add_f64_e32 v[145:146], v[65:66], v[39:40]
	v_add_f64_e32 v[75:76], v[39:40], v[35:36]
	;; [unrolled: 1-line block ×4, first 2 shown]
	s_wait_dscnt 0x1
	v_add_f64_e32 v[151:152], v[69:70], v[41:42]
	v_add_f64_e32 v[79:80], v[41:42], v[45:46]
	v_add_f64_e64 v[41:42], v[41:42], -v[45:46]
	v_add_f64_e32 v[81:82], v[43:44], v[47:48]
	v_add_f64_e64 v[147:148], v[43:44], -v[47:48]
	s_wait_dscnt 0x0
	v_add_f64_e32 v[43:44], v[67:68], v[43:44]
	v_add_f64_e64 v[37:38], v[37:38], -v[33:34]
	v_add_f64_e64 v[39:40], v[39:40], -v[35:36]
	v_fma_f64 v[85:86], v[95:96], v[97:98], v[85:86]
	v_fma_f64 v[87:88], v[105:106], v[103:104], v[87:88]
	;; [unrolled: 1-line block ×4, first 2 shown]
	v_fma_f64 v[65:66], v[75:76], -0.5, v[65:66]
	v_mul_f64_e32 v[75:76], v[95:96], v[99:100]
	v_fma_f64 v[63:64], v[77:78], -0.5, v[63:64]
	v_mul_f64_e32 v[77:78], v[103:104], v[107:108]
	;; [unrolled: 2-line block ×3, first 2 shown]
	v_fma_f64 v[67:68], v[81:82], -0.5, v[67:68]
	v_add_f64_e32 v[111:112], v[145:146], v[35:36]
	v_add_f64_e32 v[35:36], v[43:44], v[47:48]
	;; [unrolled: 1-line block ×4, first 2 shown]
	v_mul_f64_e32 v[81:82], v[135:136], v[139:140]
	v_mul_f64_e32 v[99:100], v[119:120], v[123:124]
	;; [unrolled: 1-line block ×3, first 2 shown]
	v_fma_f64 v[95:96], v[127:128], v[129:130], v[141:142]
	v_fma_f64 v[103:104], v[135:136], v[137:138], v[143:144]
	s_wait_alu 0xfffe
	v_fma_f64 v[115:116], v[147:148], s[2:3], v[65:66]
	v_fma_f64 v[119:120], v[147:148], s[0:1], v[65:66]
	;; [unrolled: 1-line block ×8, first 2 shown]
	v_fma_f64 v[33:34], v[93:94], v[97:98], -v[75:76]
	v_fma_f64 v[37:38], v[101:102], v[105:106], -v[77:78]
	v_mul_f64_e32 v[39:40], v[111:112], v[85:86]
	v_mul_f64_e32 v[69:70], v[35:36], v[85:86]
	v_mul_f64_e32 v[85:86], v[43:44], v[87:88]
	v_mul_f64_e32 v[87:88], v[45:46], v[87:88]
	v_fma_f64 v[75:76], v[109:110], v[113:114], -v[79:80]
	v_fma_f64 v[77:78], v[133:134], v[137:138], -v[81:82]
	;; [unrolled: 1-line block ×4, first 2 shown]
	v_mad_co_u64_u32 v[105:106], null, s8, v57, v[60:61]
	v_mov_b32_e32 v106, v72
	v_mad_co_u64_u32 v[107:108], null, s8, v71, v[60:61]
	v_add_nc_u32_e32 v117, 0x70, v71
	v_add_nc_u32_e32 v57, 0xe0, v57
	;; [unrolled: 1-line block ×3, first 2 shown]
	v_mad_co_u64_u32 v[109:110], null, s8, v84, v[60:61]
	v_mov_b32_e32 v108, v72
	v_lshlrev_b64_e32 v[105:106], 4, v[105:106]
	v_mov_b32_e32 v110, v72
	v_mad_co_u64_u32 v[117:118], null, s8, v117, v[60:61]
	v_mad_co_u64_u32 v[113:114], null, s8, v57, v[60:61]
	v_mov_b32_e32 v114, v72
	v_mov_b32_e32 v118, v72
	v_mul_f64_e32 v[93:94], v[115:116], v[89:90]
	v_mul_f64_e32 v[97:98], v[119:120], v[103:104]
	;; [unrolled: 1-line block ×8, first 2 shown]
	v_fma_f64 v[35:36], v[35:36], v[33:34], -v[39:40]
	v_fma_f64 v[33:34], v[111:112], v[33:34], v[69:70]
	v_fma_f64 v[39:40], v[45:46], v[37:38], -v[85:86]
	v_fma_f64 v[37:38], v[43:44], v[37:38], v[87:88]
	v_lshlrev_b64_e32 v[84:85], 4, v[117:118]
	v_fma_f64 v[43:44], v[67:68], v[75:76], -v[93:94]
	v_fma_f64 v[47:48], v[47:48], v[77:78], -v[97:98]
	;; [unrolled: 1-line block ×4, first 2 shown]
	v_fma_f64 v[67:68], v[41:42], v[81:82], v[95:96]
	v_fma_f64 v[63:64], v[123:124], v[79:80], v[91:92]
	;; [unrolled: 1-line block ×4, first 2 shown]
	v_mad_co_u64_u32 v[75:76], null, s8, v71, v[60:61]
	v_mov_b32_e32 v76, v72
	v_lshlrev_b64_e32 v[71:72], 4, v[107:108]
	v_lshlrev_b64_e32 v[77:78], 4, v[109:110]
	v_add_co_u32 v81, vcc_lo, s4, v105
	s_wait_alu 0xfffd
	v_add_co_ci_u32_e32 v82, vcc_lo, s5, v106, vcc_lo
	s_delay_alu instid0(VALU_DEP_4)
	v_add_co_u32 v71, vcc_lo, s4, v71
	s_wait_alu 0xfffd
	v_add_co_ci_u32_e32 v72, vcc_lo, s5, v72, vcc_lo
	v_lshlrev_b64_e32 v[75:76], 4, v[75:76]
	v_add_co_u32 v77, vcc_lo, s4, v77
	s_wait_alu 0xfffd
	v_add_co_ci_u32_e32 v78, vcc_lo, s5, v78, vcc_lo
	v_lshlrev_b64_e32 v[79:80], 4, v[113:114]
	v_add_co_u32 v84, vcc_lo, s4, v84
	s_wait_alu 0xfffd
	v_add_co_ci_u32_e32 v85, vcc_lo, s5, v85, vcc_lo
	v_add_co_u32 v75, vcc_lo, s4, v75
	s_wait_alu 0xfffd
	v_add_co_ci_u32_e32 v76, vcc_lo, s5, v76, vcc_lo
	;; [unrolled: 3-line block ×3, first 2 shown]
	s_clause 0x5
	global_store_b128 v[71:72], v[37:40], off
	global_store_b128 v[84:85], v[67:70], off
	;; [unrolled: 1-line block ×6, first 2 shown]
.LBB0_44:
	s_wait_alu 0xfffe
	s_or_b32 exec_lo, exec_lo, s6
	v_cmp_gt_u32_e64 s0, 0xa8, v0
	v_cmp_lt_u32_e32 vcc_lo, 0xa7, v0
	s_wait_alu 0xf1ff
	s_delay_alu instid0(VALU_DEP_2) | instskip(SKIP_3) | instid1(VALU_DEP_1)
	v_cndmask_b32_e64 v0, 0, 1, s0
	s_or_b32 vcc_lo, vcc_lo, s9
	s_mov_b32 s0, exec_lo
	s_wait_alu 0xfffe
	v_cndmask_b32_e32 v0, v83, v0, vcc_lo
	s_delay_alu instid0(VALU_DEP_1) | instskip(NEXT) | instid1(VALU_DEP_1)
	v_and_b32_e32 v0, 1, v0
	v_cmpx_eq_u32_e32 1, v0
	s_cbranch_execz .LBB0_46
; %bb.45:
	s_wait_loadcnt_dscnt 0x602
	v_mul_f64_e32 v[33:34], v[61:62], v[31:32]
	v_mul_f64_e32 v[31:32], v[53:54], v[31:32]
	;; [unrolled: 1-line block ×3, first 2 shown]
	s_wait_dscnt 0x0
	v_mul_f64_e32 v[27:28], v[49:50], v[27:28]
	s_wait_loadcnt 0x4
	v_mul_f64_e32 v[37:38], v[1:2], v[7:8]
	s_wait_loadcnt 0x2
	;; [unrolled: 2-line block ×3, first 2 shown]
	v_mul_f64_e32 v[41:42], v[17:18], v[23:24]
	s_mov_b32 s0, 0xe8584caa
	s_mov_b32 s1, 0xbfebb67a
	;; [unrolled: 1-line block ×3, first 2 shown]
	s_wait_alu 0xfffe
	s_mov_b32 s2, s0
	v_mul_f64_e32 v[7:8], v[3:4], v[7:8]
	v_mul_f64_e32 v[15:16], v[11:12], v[15:16]
	;; [unrolled: 1-line block ×3, first 2 shown]
	v_fma_f64 v[33:34], v[53:54], v[29:30], v[33:34]
	v_fma_f64 v[29:30], v[61:62], v[29:30], -v[31:32]
	v_fma_f64 v[31:32], v[49:50], v[25:26], -v[35:36]
	v_fma_f64 v[25:26], v[58:59], v[25:26], v[27:28]
	v_fma_f64 v[3:4], v[3:4], v[5:6], v[37:38]
	;; [unrolled: 1-line block ×4, first 2 shown]
	v_fma_f64 v[5:6], v[1:2], v[5:6], -v[7:8]
	v_fma_f64 v[7:8], v[9:10], v[13:14], -v[15:16]
	;; [unrolled: 1-line block ×3, first 2 shown]
	v_add_f64_e32 v[43:44], v[51:52], v[33:34]
	v_add_f64_e32 v[27:28], v[29:30], v[31:32]
	;; [unrolled: 1-line block ×3, first 2 shown]
	v_add_f64_e64 v[45:46], v[29:30], -v[31:32]
	v_add_f64_e32 v[29:30], v[55:56], v[29:30]
	v_add_f64_e64 v[33:34], v[33:34], -v[25:26]
	v_add_f64_e32 v[25:26], v[43:44], v[25:26]
	v_fma_f64 v[27:28], v[27:28], -0.5, v[55:56]
	v_fma_f64 v[35:36], v[35:36], -0.5, v[51:52]
	v_add_f64_e32 v[29:30], v[29:30], v[31:32]
	s_wait_alu 0xfffe
	s_delay_alu instid0(VALU_DEP_3) | instskip(NEXT) | instid1(VALU_DEP_3)
	v_fma_f64 v[31:32], v[33:34], s[2:3], v[27:28]
	v_fma_f64 v[37:38], v[45:46], s[0:1], v[35:36]
	;; [unrolled: 1-line block ×4, first 2 shown]
	v_mul_f64_e32 v[0:1], v[29:30], v[3:4]
	v_mul_f64_e32 v[2:3], v[25:26], v[3:4]
	;; [unrolled: 1-line block ×6, first 2 shown]
	v_fma_f64 v[0:1], v[25:26], v[5:6], v[0:1]
	v_fma_f64 v[2:3], v[29:30], v[5:6], -v[2:3]
	v_and_b32_e32 v19, 0xffff, v74
	v_fma_f64 v[4:5], v[37:38], v[7:8], v[9:10]
	v_fma_f64 v[6:7], v[31:32], v[7:8], -v[11:12]
	v_fma_f64 v[8:9], v[33:34], v[13:14], v[15:16]
	v_fma_f64 v[10:11], v[27:28], v[13:14], -v[17:18]
	v_mad_u32_u24 v14, 0xe0, v19, v73
	s_delay_alu instid0(VALU_DEP_1) | instskip(SKIP_2) | instid1(VALU_DEP_3)
	v_add_nc_u32_e32 v15, 0x70, v14
	v_mad_co_u64_u32 v[12:13], null, s8, v14, v[60:61]
	v_dual_mov_b32 v13, 0 :: v_dual_add_nc_u32 v16, 0xe0, v14
	v_mad_co_u64_u32 v[14:15], null, s8, v15, v[60:61]
	s_delay_alu instid0(VALU_DEP_2) | instskip(NEXT) | instid1(VALU_DEP_3)
	v_mad_co_u64_u32 v[16:17], null, s8, v16, v[60:61]
	v_mov_b32_e32 v15, v13
	v_mov_b32_e32 v17, v13
	v_lshlrev_b64_e32 v[12:13], 4, v[12:13]
	s_delay_alu instid0(VALU_DEP_3) | instskip(NEXT) | instid1(VALU_DEP_3)
	v_lshlrev_b64_e32 v[14:15], 4, v[14:15]
	v_lshlrev_b64_e32 v[16:17], 4, v[16:17]
	s_delay_alu instid0(VALU_DEP_3) | instskip(SKIP_1) | instid1(VALU_DEP_4)
	v_add_co_u32 v12, vcc_lo, s4, v12
	s_wait_alu 0xfffd
	v_add_co_ci_u32_e32 v13, vcc_lo, s5, v13, vcc_lo
	s_delay_alu instid0(VALU_DEP_4)
	v_add_co_u32 v14, vcc_lo, s4, v14
	s_wait_alu 0xfffd
	v_add_co_ci_u32_e32 v15, vcc_lo, s5, v15, vcc_lo
	v_add_co_u32 v16, vcc_lo, s4, v16
	s_wait_alu 0xfffd
	v_add_co_ci_u32_e32 v17, vcc_lo, s5, v17, vcc_lo
	s_clause 0x2
	global_store_b128 v[12:13], v[0:3], off
	global_store_b128 v[14:15], v[4:7], off
	global_store_b128 v[16:17], v[8:11], off
.LBB0_46:
	s_nop 0
	s_sendmsg sendmsg(MSG_DEALLOC_VGPRS)
	s_endpgm
	.section	.rodata,"a",@progbits
	.p2align	6, 0x0
	.amdhsa_kernel fft_rtc_back_len336_factors_7_8_2_3_wgs_252_tpt_42_halfLds_dim3_dp_ip_CI_sbcc_twdbase8_2step_dirReg_intrinsicReadWrite
		.amdhsa_group_segment_fixed_size 0
		.amdhsa_private_segment_fixed_size 0
		.amdhsa_kernarg_size 88
		.amdhsa_user_sgpr_count 2
		.amdhsa_user_sgpr_dispatch_ptr 0
		.amdhsa_user_sgpr_queue_ptr 0
		.amdhsa_user_sgpr_kernarg_segment_ptr 1
		.amdhsa_user_sgpr_dispatch_id 0
		.amdhsa_user_sgpr_private_segment_size 0
		.amdhsa_wavefront_size32 1
		.amdhsa_uses_dynamic_stack 0
		.amdhsa_enable_private_segment 0
		.amdhsa_system_sgpr_workgroup_id_x 1
		.amdhsa_system_sgpr_workgroup_id_y 0
		.amdhsa_system_sgpr_workgroup_id_z 0
		.amdhsa_system_sgpr_workgroup_info 0
		.amdhsa_system_vgpr_workitem_id 0
		.amdhsa_next_free_vgpr 154
		.amdhsa_next_free_sgpr 36
		.amdhsa_reserve_vcc 1
		.amdhsa_float_round_mode_32 0
		.amdhsa_float_round_mode_16_64 0
		.amdhsa_float_denorm_mode_32 3
		.amdhsa_float_denorm_mode_16_64 3
		.amdhsa_fp16_overflow 0
		.amdhsa_workgroup_processor_mode 1
		.amdhsa_memory_ordered 1
		.amdhsa_forward_progress 0
		.amdhsa_round_robin_scheduling 0
		.amdhsa_exception_fp_ieee_invalid_op 0
		.amdhsa_exception_fp_denorm_src 0
		.amdhsa_exception_fp_ieee_div_zero 0
		.amdhsa_exception_fp_ieee_overflow 0
		.amdhsa_exception_fp_ieee_underflow 0
		.amdhsa_exception_fp_ieee_inexact 0
		.amdhsa_exception_int_div_zero 0
	.end_amdhsa_kernel
	.text
.Lfunc_end0:
	.size	fft_rtc_back_len336_factors_7_8_2_3_wgs_252_tpt_42_halfLds_dim3_dp_ip_CI_sbcc_twdbase8_2step_dirReg_intrinsicReadWrite, .Lfunc_end0-fft_rtc_back_len336_factors_7_8_2_3_wgs_252_tpt_42_halfLds_dim3_dp_ip_CI_sbcc_twdbase8_2step_dirReg_intrinsicReadWrite
                                        ; -- End function
	.section	.AMDGPU.csdata,"",@progbits
; Kernel info:
; codeLenInByte = 9052
; NumSgprs: 38
; NumVgprs: 154
; ScratchSize: 0
; MemoryBound: 0
; FloatMode: 240
; IeeeMode: 1
; LDSByteSize: 0 bytes/workgroup (compile time only)
; SGPRBlocks: 4
; VGPRBlocks: 19
; NumSGPRsForWavesPerEU: 38
; NumVGPRsForWavesPerEU: 154
; Occupancy: 9
; WaveLimiterHint : 1
; COMPUTE_PGM_RSRC2:SCRATCH_EN: 0
; COMPUTE_PGM_RSRC2:USER_SGPR: 2
; COMPUTE_PGM_RSRC2:TRAP_HANDLER: 0
; COMPUTE_PGM_RSRC2:TGID_X_EN: 1
; COMPUTE_PGM_RSRC2:TGID_Y_EN: 0
; COMPUTE_PGM_RSRC2:TGID_Z_EN: 0
; COMPUTE_PGM_RSRC2:TIDIG_COMP_CNT: 0
	.text
	.p2alignl 7, 3214868480
	.fill 96, 4, 3214868480
	.type	__hip_cuid_9123d2ef711abce1,@object ; @__hip_cuid_9123d2ef711abce1
	.section	.bss,"aw",@nobits
	.globl	__hip_cuid_9123d2ef711abce1
__hip_cuid_9123d2ef711abce1:
	.byte	0                               ; 0x0
	.size	__hip_cuid_9123d2ef711abce1, 1

	.ident	"AMD clang version 19.0.0git (https://github.com/RadeonOpenCompute/llvm-project roc-6.4.0 25133 c7fe45cf4b819c5991fe208aaa96edf142730f1d)"
	.section	".note.GNU-stack","",@progbits
	.addrsig
	.addrsig_sym __hip_cuid_9123d2ef711abce1
	.amdgpu_metadata
---
amdhsa.kernels:
  - .args:
      - .actual_access:  read_only
        .address_space:  global
        .offset:         0
        .size:           8
        .value_kind:     global_buffer
      - .address_space:  global
        .offset:         8
        .size:           8
        .value_kind:     global_buffer
      - .actual_access:  read_only
        .address_space:  global
        .offset:         16
        .size:           8
        .value_kind:     global_buffer
      - .actual_access:  read_only
        .address_space:  global
        .offset:         24
        .size:           8
        .value_kind:     global_buffer
      - .offset:         32
        .size:           8
        .value_kind:     by_value
      - .actual_access:  read_only
        .address_space:  global
        .offset:         40
        .size:           8
        .value_kind:     global_buffer
      - .actual_access:  read_only
        .address_space:  global
        .offset:         48
        .size:           8
        .value_kind:     global_buffer
      - .offset:         56
        .size:           4
        .value_kind:     by_value
      - .actual_access:  read_only
        .address_space:  global
        .offset:         64
        .size:           8
        .value_kind:     global_buffer
      - .actual_access:  read_only
        .address_space:  global
        .offset:         72
        .size:           8
        .value_kind:     global_buffer
      - .address_space:  global
        .offset:         80
        .size:           8
        .value_kind:     global_buffer
    .group_segment_fixed_size: 0
    .kernarg_segment_align: 8
    .kernarg_segment_size: 88
    .language:       OpenCL C
    .language_version:
      - 2
      - 0
    .max_flat_workgroup_size: 252
    .name:           fft_rtc_back_len336_factors_7_8_2_3_wgs_252_tpt_42_halfLds_dim3_dp_ip_CI_sbcc_twdbase8_2step_dirReg_intrinsicReadWrite
    .private_segment_fixed_size: 0
    .sgpr_count:     38
    .sgpr_spill_count: 0
    .symbol:         fft_rtc_back_len336_factors_7_8_2_3_wgs_252_tpt_42_halfLds_dim3_dp_ip_CI_sbcc_twdbase8_2step_dirReg_intrinsicReadWrite.kd
    .uniform_work_group_size: 1
    .uses_dynamic_stack: false
    .vgpr_count:     154
    .vgpr_spill_count: 0
    .wavefront_size: 32
    .workgroup_processor_mode: 1
amdhsa.target:   amdgcn-amd-amdhsa--gfx1201
amdhsa.version:
  - 1
  - 2
...

	.end_amdgpu_metadata
